;; amdgpu-corpus repo=ROCm/rocFFT kind=compiled arch=gfx950 opt=O3
	.text
	.amdgcn_target "amdgcn-amd-amdhsa--gfx950"
	.amdhsa_code_object_version 6
	.protected	bluestein_single_fwd_len3_dim1_dp_op_CI_CI ; -- Begin function bluestein_single_fwd_len3_dim1_dp_op_CI_CI
	.globl	bluestein_single_fwd_len3_dim1_dp_op_CI_CI
	.p2align	8
	.type	bluestein_single_fwd_len3_dim1_dp_op_CI_CI,@function
bluestein_single_fwd_len3_dim1_dp_op_CI_CI: ; @bluestein_single_fwd_len3_dim1_dp_op_CI_CI
; %bb.0:
	s_load_dwordx4 s[8:11], s[0:1], 0x28
	v_lshl_or_b32 v14, s2, 6, v0
	v_mov_b32_e32 v15, 0
	s_waitcnt lgkmcnt(0)
	v_cmp_gt_u64_e32 vcc, s[8:9], v[14:15]
	s_and_saveexec_b64 s[2:3], vcc
	s_cbranch_execz .LBB0_2
; %bb.1:
	s_load_dwordx4 s[16:19], s[0:1], 0x18
	v_mov_b32_e32 v2, s10
	v_mov_b32_e32 v3, s11
	v_mul_u32_u24_e32 v30, 48, v0
	s_mov_b32 s24, 0xe8584caa
	s_waitcnt lgkmcnt(0)
	s_load_dwordx4 s[4:7], s[16:17], 0x0
	s_mov_b32 s25, 0x3febb67a
	s_mov_b32 s27, 0xbfebb67a
	;; [unrolled: 1-line block ×4, first 2 shown]
	s_waitcnt lgkmcnt(0)
	v_mad_u64_u32 v[4:5], s[2:3], s6, v14, 0
	v_mov_b32_e32 v6, v5
	v_mad_u64_u32 v[6:7], s[2:3], s7, v14, v[6:7]
	v_mov_b32_e32 v5, v6
	v_lshl_add_u64 v[10:11], v[4:5], 4, v[2:3]
	global_load_dwordx4 v[2:5], v[10:11], off
	s_lshl_b64 s[2:3], s[4:5], 5
	v_lshl_add_u64 v[6:7], s[4:5], 4, v[10:11]
	global_load_dwordx4 v[6:9], v[6:7], off
	v_lshl_add_u64 v[10:11], v[10:11], 0, s[2:3]
	global_load_dwordx4 v[10:13], v[10:11], off
	s_load_dwordx2 s[20:21], s[0:1], 0x0
	s_load_dwordx2 s[22:23], s[0:1], 0x38
	s_mov_b32 s29, 0x3fd55555
	s_load_dwordx4 s[16:19], s[18:19], 0x0
	s_waitcnt lgkmcnt(0)
	s_load_dwordx16 s[0:15], s[20:21], 0x0
	s_waitcnt vmcnt(2) lgkmcnt(0)
	v_mul_f64 v[0:1], v[4:5], s[2:3]
	v_mul_f64 v[16:17], v[2:3], s[2:3]
	v_fmac_f64_e32 v[0:1], s[0:1], v[2:3]
	v_fma_f64 v[2:3], v[4:5], s[0:1], -v[16:17]
	s_waitcnt vmcnt(1)
	v_mul_f64 v[4:5], v[8:9], s[6:7]
	v_mul_f64 v[18:19], v[6:7], s[6:7]
	s_waitcnt vmcnt(0)
	v_mul_f64 v[16:17], v[12:13], s[10:11]
	v_mul_f64 v[20:21], v[10:11], s[10:11]
	v_fmac_f64_e32 v[4:5], s[4:5], v[6:7]
	v_fma_f64 v[6:7], v[8:9], s[4:5], -v[18:19]
	ds_write_b128 v30, v[0:3]
	v_fmac_f64_e32 v[16:17], s[8:9], v[10:11]
	v_fma_f64 v[18:19], v[12:13], s[8:9], -v[20:21]
	ds_write_b128 v30, v[4:7] offset:16
	ds_write_b128 v30, v[16:19] offset:32
	s_waitcnt lgkmcnt(0)
	; wave barrier
	s_waitcnt lgkmcnt(0)
	ds_read_b128 v[0:3], v30
	ds_read_b128 v[4:7], v30 offset:16
	ds_read_b128 v[8:11], v30 offset:32
	v_mov_b32_e32 v12, s22
	v_mov_b32_e32 v13, s23
	s_waitcnt lgkmcnt(1)
	v_add_f64 v[16:17], v[0:1], v[4:5]
	s_waitcnt lgkmcnt(0)
	v_add_f64 v[18:19], v[4:5], v[8:9]
	v_add_f64 v[24:25], v[6:7], v[10:11]
	v_add_f64 v[20:21], v[6:7], -v[10:11]
	v_add_f64 v[22:23], v[2:3], v[6:7]
	v_add_f64 v[26:27], v[4:5], -v[8:9]
	v_fmac_f64_e32 v[0:1], -0.5, v[18:19]
	v_fmac_f64_e32 v[2:3], -0.5, v[24:25]
	v_add_f64 v[4:5], v[16:17], v[8:9]
	v_add_f64 v[6:7], v[22:23], v[10:11]
	v_fma_f64 v[8:9], s[24:25], v[20:21], v[0:1]
	v_fmac_f64_e32 v[0:1], s[26:27], v[20:21]
	v_fma_f64 v[10:11], s[26:27], v[26:27], v[2:3]
	v_fmac_f64_e32 v[2:3], s[24:25], v[26:27]
	ds_write_b128 v30, v[4:7]
	ds_write_b128 v30, v[8:11] offset:16
	ds_write_b128 v30, v[0:3] offset:32
	s_waitcnt lgkmcnt(0)
	; wave barrier
	s_waitcnt lgkmcnt(0)
	ds_read_b128 v[0:3], v30
	ds_read_b128 v[4:7], v30 offset:16
	s_load_dwordx8 s[36:43], s[20:21], 0x40
	ds_read_b128 v[8:11], v30 offset:32
	v_mad_u64_u32 v[28:29], s[20:21], s18, v14, 0
	s_waitcnt lgkmcnt(0)
	v_mul_f64 v[16:17], v[2:3], s[14:15]
	v_mul_f64 v[18:19], v[0:1], s[14:15]
	;; [unrolled: 1-line block ×6, first 2 shown]
	v_fma_f64 v[16:17], v[0:1], s[12:13], -v[16:17]
	v_fmac_f64_e32 v[18:19], s[12:13], v[2:3]
	v_fma_f64 v[20:21], v[4:5], s[36:37], -v[20:21]
	v_fmac_f64_e32 v[22:23], s[36:37], v[6:7]
	;; [unrolled: 2-line block ×3, first 2 shown]
	ds_write_b128 v30, v[16:19]
	ds_write_b128 v30, v[20:23] offset:16
	ds_write_b128 v30, v[24:27] offset:32
	s_waitcnt lgkmcnt(0)
	; wave barrier
	s_waitcnt lgkmcnt(0)
	ds_read_b128 v[0:3], v30
	ds_read_b128 v[4:7], v30 offset:16
	ds_read_b128 v[8:11], v30 offset:32
	v_mov_b32_e32 v16, v29
	v_mad_u64_u32 v[14:15], s[12:13], s19, v14, v[16:17]
	s_waitcnt lgkmcnt(1)
	v_add_f64 v[16:17], v[0:1], v[4:5]
	s_waitcnt lgkmcnt(0)
	v_add_f64 v[18:19], v[4:5], v[8:9]
	v_add_f64 v[24:25], v[6:7], v[10:11]
	v_add_f64 v[20:21], v[6:7], -v[10:11]
	v_add_f64 v[22:23], v[2:3], v[6:7]
	v_add_f64 v[26:27], v[4:5], -v[8:9]
	v_fmac_f64_e32 v[0:1], -0.5, v[18:19]
	v_fmac_f64_e32 v[2:3], -0.5, v[24:25]
	v_add_f64 v[4:5], v[16:17], v[8:9]
	v_add_f64 v[6:7], v[22:23], v[10:11]
	v_fma_f64 v[8:9], s[26:27], v[20:21], v[0:1]
	v_fmac_f64_e32 v[0:1], s[24:25], v[20:21]
	v_fma_f64 v[10:11], s[24:25], v[26:27], v[2:3]
	v_fmac_f64_e32 v[2:3], s[26:27], v[26:27]
	ds_write_b128 v30, v[4:7]
	ds_write_b128 v30, v[8:11] offset:16
	ds_write_b128 v30, v[0:3] offset:32
	s_waitcnt lgkmcnt(0)
	; wave barrier
	s_waitcnt lgkmcnt(0)
	ds_read_b128 v[0:3], v30
	ds_read_b128 v[4:7], v30 offset:16
	v_mov_b32_e32 v29, v14
	ds_read_b128 v[8:11], v30 offset:32
	v_lshl_add_u64 v[12:13], v[28:29], 4, v[12:13]
	s_waitcnt lgkmcnt(2)
	v_mul_f64 v[14:15], s[2:3], v[2:3]
	v_mul_f64 v[16:17], s[2:3], v[0:1]
	v_fmac_f64_e32 v[14:15], s[0:1], v[0:1]
	v_fma_f64 v[2:3], s[0:1], v[2:3], -v[16:17]
	v_mul_f64 v[0:1], v[14:15], s[28:29]
	v_mul_f64 v[2:3], v[2:3], s[28:29]
	s_waitcnt lgkmcnt(1)
	v_mul_f64 v[18:19], s[6:7], v[6:7]
	global_store_dwordx4 v[12:13], v[0:3], off
	v_fmac_f64_e32 v[18:19], s[4:5], v[4:5]
	s_lshl_b64 s[0:1], s[16:17], 5
	v_mul_f64 v[2:3], s[6:7], v[4:5]
	v_fma_f64 v[2:3], s[4:5], v[6:7], -v[2:3]
	v_mul_f64 v[0:1], v[18:19], s[28:29]
	v_mul_f64 v[2:3], v[2:3], s[28:29]
	v_lshl_add_u64 v[4:5], s[16:17], 4, v[12:13]
	global_store_dwordx4 v[4:5], v[0:3], off
	v_lshl_add_u64 v[4:5], v[12:13], 0, s[0:1]
	s_waitcnt lgkmcnt(0)
	v_mul_f64 v[0:1], s[10:11], v[10:11]
	v_mul_f64 v[2:3], s[10:11], v[8:9]
	v_fmac_f64_e32 v[0:1], s[8:9], v[8:9]
	v_fma_f64 v[2:3], s[8:9], v[10:11], -v[2:3]
	v_mul_f64 v[0:1], v[0:1], s[28:29]
	v_mul_f64 v[2:3], v[2:3], s[28:29]
	global_store_dwordx4 v[4:5], v[0:3], off
.LBB0_2:
	s_endpgm
	.section	.rodata,"a",@progbits
	.p2align	6, 0x0
	.amdhsa_kernel bluestein_single_fwd_len3_dim1_dp_op_CI_CI
		.amdhsa_group_segment_fixed_size 3072
		.amdhsa_private_segment_fixed_size 0
		.amdhsa_kernarg_size 104
		.amdhsa_user_sgpr_count 2
		.amdhsa_user_sgpr_dispatch_ptr 0
		.amdhsa_user_sgpr_queue_ptr 0
		.amdhsa_user_sgpr_kernarg_segment_ptr 1
		.amdhsa_user_sgpr_dispatch_id 0
		.amdhsa_user_sgpr_kernarg_preload_length 0
		.amdhsa_user_sgpr_kernarg_preload_offset 0
		.amdhsa_user_sgpr_private_segment_size 0
		.amdhsa_uses_dynamic_stack 0
		.amdhsa_enable_private_segment 0
		.amdhsa_system_sgpr_workgroup_id_x 1
		.amdhsa_system_sgpr_workgroup_id_y 0
		.amdhsa_system_sgpr_workgroup_id_z 0
		.amdhsa_system_sgpr_workgroup_info 0
		.amdhsa_system_vgpr_workitem_id 0
		.amdhsa_next_free_vgpr 31
		.amdhsa_next_free_sgpr 44
		.amdhsa_accum_offset 32
		.amdhsa_reserve_vcc 1
		.amdhsa_float_round_mode_32 0
		.amdhsa_float_round_mode_16_64 0
		.amdhsa_float_denorm_mode_32 3
		.amdhsa_float_denorm_mode_16_64 3
		.amdhsa_dx10_clamp 1
		.amdhsa_ieee_mode 1
		.amdhsa_fp16_overflow 0
		.amdhsa_tg_split 0
		.amdhsa_exception_fp_ieee_invalid_op 0
		.amdhsa_exception_fp_denorm_src 0
		.amdhsa_exception_fp_ieee_div_zero 0
		.amdhsa_exception_fp_ieee_overflow 0
		.amdhsa_exception_fp_ieee_underflow 0
		.amdhsa_exception_fp_ieee_inexact 0
		.amdhsa_exception_int_div_zero 0
	.end_amdhsa_kernel
	.text
.Lfunc_end0:
	.size	bluestein_single_fwd_len3_dim1_dp_op_CI_CI, .Lfunc_end0-bluestein_single_fwd_len3_dim1_dp_op_CI_CI
                                        ; -- End function
	.section	.AMDGPU.csdata,"",@progbits
; Kernel info:
; codeLenInByte = 1084
; NumSgprs: 50
; NumVgprs: 31
; NumAgprs: 0
; TotalNumVgprs: 31
; ScratchSize: 0
; MemoryBound: 0
; FloatMode: 240
; IeeeMode: 1
; LDSByteSize: 3072 bytes/workgroup (compile time only)
; SGPRBlocks: 6
; VGPRBlocks: 3
; NumSGPRsForWavesPerEU: 50
; NumVGPRsForWavesPerEU: 31
; AccumOffset: 32
; Occupancy: 8
; WaveLimiterHint : 1
; COMPUTE_PGM_RSRC2:SCRATCH_EN: 0
; COMPUTE_PGM_RSRC2:USER_SGPR: 2
; COMPUTE_PGM_RSRC2:TRAP_HANDLER: 0
; COMPUTE_PGM_RSRC2:TGID_X_EN: 1
; COMPUTE_PGM_RSRC2:TGID_Y_EN: 0
; COMPUTE_PGM_RSRC2:TGID_Z_EN: 0
; COMPUTE_PGM_RSRC2:TIDIG_COMP_CNT: 0
; COMPUTE_PGM_RSRC3_GFX90A:ACCUM_OFFSET: 7
; COMPUTE_PGM_RSRC3_GFX90A:TG_SPLIT: 0
	.text
	.p2alignl 6, 3212836864
	.fill 256, 4, 3212836864
	.type	__hip_cuid_fdca09860205cdc6,@object ; @__hip_cuid_fdca09860205cdc6
	.section	.bss,"aw",@nobits
	.globl	__hip_cuid_fdca09860205cdc6
__hip_cuid_fdca09860205cdc6:
	.byte	0                               ; 0x0
	.size	__hip_cuid_fdca09860205cdc6, 1

	.ident	"AMD clang version 19.0.0git (https://github.com/RadeonOpenCompute/llvm-project roc-6.4.0 25133 c7fe45cf4b819c5991fe208aaa96edf142730f1d)"
	.section	".note.GNU-stack","",@progbits
	.addrsig
	.addrsig_sym __hip_cuid_fdca09860205cdc6
	.amdgpu_metadata
---
amdhsa.kernels:
  - .agpr_count:     0
    .args:
      - .actual_access:  read_only
        .address_space:  global
        .offset:         0
        .size:           8
        .value_kind:     global_buffer
      - .actual_access:  read_only
        .address_space:  global
        .offset:         8
        .size:           8
        .value_kind:     global_buffer
      - .actual_access:  read_only
        .address_space:  global
        .offset:         16
        .size:           8
        .value_kind:     global_buffer
      - .actual_access:  read_only
        .address_space:  global
        .offset:         24
        .size:           8
        .value_kind:     global_buffer
      - .actual_access:  read_only
        .address_space:  global
        .offset:         32
        .size:           8
        .value_kind:     global_buffer
      - .offset:         40
        .size:           8
        .value_kind:     by_value
      - .address_space:  global
        .offset:         48
        .size:           8
        .value_kind:     global_buffer
      - .address_space:  global
        .offset:         56
        .size:           8
        .value_kind:     global_buffer
      - .address_space:  global
        .offset:         64
        .size:           8
        .value_kind:     global_buffer
      - .address_space:  global
        .offset:         72
        .size:           8
        .value_kind:     global_buffer
      - .offset:         80
        .size:           4
        .value_kind:     by_value
      - .address_space:  global
        .offset:         88
        .size:           8
        .value_kind:     global_buffer
      - .address_space:  global
        .offset:         96
        .size:           8
        .value_kind:     global_buffer
    .group_segment_fixed_size: 3072
    .kernarg_segment_align: 8
    .kernarg_segment_size: 104
    .language:       OpenCL C
    .language_version:
      - 2
      - 0
    .max_flat_workgroup_size: 64
    .name:           bluestein_single_fwd_len3_dim1_dp_op_CI_CI
    .private_segment_fixed_size: 0
    .sgpr_count:     50
    .sgpr_spill_count: 0
    .symbol:         bluestein_single_fwd_len3_dim1_dp_op_CI_CI.kd
    .uniform_work_group_size: 1
    .uses_dynamic_stack: false
    .vgpr_count:     31
    .vgpr_spill_count: 0
    .wavefront_size: 64
amdhsa.target:   amdgcn-amd-amdhsa--gfx950
amdhsa.version:
  - 1
  - 2
...

	.end_amdgpu_metadata
